;; amdgpu-corpus repo=ROCm/rocFFT kind=compiled arch=gfx906 opt=O3
	.text
	.amdgcn_target "amdgcn-amd-amdhsa--gfx906"
	.amdhsa_code_object_version 6
	.protected	fft_rtc_fwd_len1456_factors_13_4_7_2_2_wgs_182_tpt_182_halfLds_sp_ip_CI_unitstride_sbrr_R2C_dirReg ; -- Begin function fft_rtc_fwd_len1456_factors_13_4_7_2_2_wgs_182_tpt_182_halfLds_sp_ip_CI_unitstride_sbrr_R2C_dirReg
	.globl	fft_rtc_fwd_len1456_factors_13_4_7_2_2_wgs_182_tpt_182_halfLds_sp_ip_CI_unitstride_sbrr_R2C_dirReg
	.p2align	8
	.type	fft_rtc_fwd_len1456_factors_13_4_7_2_2_wgs_182_tpt_182_halfLds_sp_ip_CI_unitstride_sbrr_R2C_dirReg,@function
fft_rtc_fwd_len1456_factors_13_4_7_2_2_wgs_182_tpt_182_halfLds_sp_ip_CI_unitstride_sbrr_R2C_dirReg: ; @fft_rtc_fwd_len1456_factors_13_4_7_2_2_wgs_182_tpt_182_halfLds_sp_ip_CI_unitstride_sbrr_R2C_dirReg
; %bb.0:
	s_load_dwordx2 s[2:3], s[4:5], 0x50
	s_load_dwordx4 s[8:11], s[4:5], 0x0
	s_load_dwordx2 s[12:13], s[4:5], 0x18
	v_mul_u32_u24_e32 v1, 0x169, v0
	v_add_u32_sdwa v5, s6, v1 dst_sel:DWORD dst_unused:UNUSED_PAD src0_sel:DWORD src1_sel:WORD_1
	v_mov_b32_e32 v3, 0
	s_waitcnt lgkmcnt(0)
	v_cmp_lt_u64_e64 s[0:1], s[10:11], 2
	v_mov_b32_e32 v1, 0
	v_mov_b32_e32 v6, v3
	s_and_b64 vcc, exec, s[0:1]
	v_mov_b32_e32 v2, 0
	s_cbranch_vccnz .LBB0_8
; %bb.1:
	s_load_dwordx2 s[0:1], s[4:5], 0x10
	s_add_u32 s6, s12, 8
	s_addc_u32 s7, s13, 0
	v_mov_b32_e32 v1, 0
	v_mov_b32_e32 v2, 0
	s_waitcnt lgkmcnt(0)
	s_add_u32 s14, s0, 8
	s_addc_u32 s15, s1, 0
	s_mov_b64 s[16:17], 1
.LBB0_2:                                ; =>This Inner Loop Header: Depth=1
	s_load_dwordx2 s[18:19], s[14:15], 0x0
                                        ; implicit-def: $vgpr7_vgpr8
	s_waitcnt lgkmcnt(0)
	v_or_b32_e32 v4, s19, v6
	v_cmp_ne_u64_e32 vcc, 0, v[3:4]
	s_and_saveexec_b64 s[0:1], vcc
	s_xor_b64 s[20:21], exec, s[0:1]
	s_cbranch_execz .LBB0_4
; %bb.3:                                ;   in Loop: Header=BB0_2 Depth=1
	v_cvt_f32_u32_e32 v4, s18
	v_cvt_f32_u32_e32 v7, s19
	s_sub_u32 s0, 0, s18
	s_subb_u32 s1, 0, s19
	v_mac_f32_e32 v4, 0x4f800000, v7
	v_rcp_f32_e32 v4, v4
	v_mul_f32_e32 v4, 0x5f7ffffc, v4
	v_mul_f32_e32 v7, 0x2f800000, v4
	v_trunc_f32_e32 v7, v7
	v_mac_f32_e32 v4, 0xcf800000, v7
	v_cvt_u32_f32_e32 v7, v7
	v_cvt_u32_f32_e32 v4, v4
	v_mul_lo_u32 v8, s0, v7
	v_mul_hi_u32 v9, s0, v4
	v_mul_lo_u32 v11, s1, v4
	v_mul_lo_u32 v10, s0, v4
	v_add_u32_e32 v8, v9, v8
	v_add_u32_e32 v8, v8, v11
	v_mul_hi_u32 v9, v4, v10
	v_mul_lo_u32 v11, v4, v8
	v_mul_hi_u32 v13, v4, v8
	v_mul_hi_u32 v12, v7, v10
	v_mul_lo_u32 v10, v7, v10
	v_mul_hi_u32 v14, v7, v8
	v_add_co_u32_e32 v9, vcc, v9, v11
	v_addc_co_u32_e32 v11, vcc, 0, v13, vcc
	v_mul_lo_u32 v8, v7, v8
	v_add_co_u32_e32 v9, vcc, v9, v10
	v_addc_co_u32_e32 v9, vcc, v11, v12, vcc
	v_addc_co_u32_e32 v10, vcc, 0, v14, vcc
	v_add_co_u32_e32 v8, vcc, v9, v8
	v_addc_co_u32_e32 v9, vcc, 0, v10, vcc
	v_add_co_u32_e32 v4, vcc, v4, v8
	v_addc_co_u32_e32 v7, vcc, v7, v9, vcc
	v_mul_lo_u32 v8, s0, v7
	v_mul_hi_u32 v9, s0, v4
	v_mul_lo_u32 v10, s1, v4
	v_mul_lo_u32 v11, s0, v4
	v_add_u32_e32 v8, v9, v8
	v_add_u32_e32 v8, v8, v10
	v_mul_lo_u32 v12, v4, v8
	v_mul_hi_u32 v13, v4, v11
	v_mul_hi_u32 v14, v4, v8
	;; [unrolled: 1-line block ×3, first 2 shown]
	v_mul_lo_u32 v11, v7, v11
	v_mul_hi_u32 v9, v7, v8
	v_add_co_u32_e32 v12, vcc, v13, v12
	v_addc_co_u32_e32 v13, vcc, 0, v14, vcc
	v_mul_lo_u32 v8, v7, v8
	v_add_co_u32_e32 v11, vcc, v12, v11
	v_addc_co_u32_e32 v10, vcc, v13, v10, vcc
	v_addc_co_u32_e32 v9, vcc, 0, v9, vcc
	v_add_co_u32_e32 v8, vcc, v10, v8
	v_addc_co_u32_e32 v9, vcc, 0, v9, vcc
	v_add_co_u32_e32 v4, vcc, v4, v8
	v_addc_co_u32_e32 v9, vcc, v7, v9, vcc
	v_mad_u64_u32 v[7:8], s[0:1], v5, v9, 0
	v_mul_hi_u32 v10, v5, v4
	v_add_co_u32_e32 v11, vcc, v10, v7
	v_addc_co_u32_e32 v12, vcc, 0, v8, vcc
	v_mad_u64_u32 v[7:8], s[0:1], v6, v4, 0
	v_mad_u64_u32 v[9:10], s[0:1], v6, v9, 0
	v_add_co_u32_e32 v4, vcc, v11, v7
	v_addc_co_u32_e32 v4, vcc, v12, v8, vcc
	v_addc_co_u32_e32 v7, vcc, 0, v10, vcc
	v_add_co_u32_e32 v4, vcc, v4, v9
	v_addc_co_u32_e32 v9, vcc, 0, v7, vcc
	v_mul_lo_u32 v10, s19, v4
	v_mul_lo_u32 v11, s18, v9
	v_mad_u64_u32 v[7:8], s[0:1], s18, v4, 0
	v_add3_u32 v8, v8, v11, v10
	v_sub_u32_e32 v10, v6, v8
	v_mov_b32_e32 v11, s19
	v_sub_co_u32_e32 v7, vcc, v5, v7
	v_subb_co_u32_e64 v10, s[0:1], v10, v11, vcc
	v_subrev_co_u32_e64 v11, s[0:1], s18, v7
	v_subbrev_co_u32_e64 v10, s[0:1], 0, v10, s[0:1]
	v_cmp_le_u32_e64 s[0:1], s19, v10
	v_cndmask_b32_e64 v12, 0, -1, s[0:1]
	v_cmp_le_u32_e64 s[0:1], s18, v11
	v_cndmask_b32_e64 v11, 0, -1, s[0:1]
	v_cmp_eq_u32_e64 s[0:1], s19, v10
	v_cndmask_b32_e64 v10, v12, v11, s[0:1]
	v_add_co_u32_e64 v11, s[0:1], 2, v4
	v_addc_co_u32_e64 v12, s[0:1], 0, v9, s[0:1]
	v_add_co_u32_e64 v13, s[0:1], 1, v4
	v_addc_co_u32_e64 v14, s[0:1], 0, v9, s[0:1]
	v_subb_co_u32_e32 v8, vcc, v6, v8, vcc
	v_cmp_ne_u32_e64 s[0:1], 0, v10
	v_cmp_le_u32_e32 vcc, s19, v8
	v_cndmask_b32_e64 v10, v14, v12, s[0:1]
	v_cndmask_b32_e64 v12, 0, -1, vcc
	v_cmp_le_u32_e32 vcc, s18, v7
	v_cndmask_b32_e64 v7, 0, -1, vcc
	v_cmp_eq_u32_e32 vcc, s19, v8
	v_cndmask_b32_e32 v7, v12, v7, vcc
	v_cmp_ne_u32_e32 vcc, 0, v7
	v_cndmask_b32_e64 v7, v13, v11, s[0:1]
	v_cndmask_b32_e32 v8, v9, v10, vcc
	v_cndmask_b32_e32 v7, v4, v7, vcc
.LBB0_4:                                ;   in Loop: Header=BB0_2 Depth=1
	s_andn2_saveexec_b64 s[0:1], s[20:21]
	s_cbranch_execz .LBB0_6
; %bb.5:                                ;   in Loop: Header=BB0_2 Depth=1
	v_cvt_f32_u32_e32 v4, s18
	s_sub_i32 s20, 0, s18
	v_rcp_iflag_f32_e32 v4, v4
	v_mul_f32_e32 v4, 0x4f7ffffe, v4
	v_cvt_u32_f32_e32 v4, v4
	v_mul_lo_u32 v7, s20, v4
	v_mul_hi_u32 v7, v4, v7
	v_add_u32_e32 v4, v4, v7
	v_mul_hi_u32 v4, v5, v4
	v_mul_lo_u32 v7, v4, s18
	v_add_u32_e32 v8, 1, v4
	v_sub_u32_e32 v7, v5, v7
	v_subrev_u32_e32 v9, s18, v7
	v_cmp_le_u32_e32 vcc, s18, v7
	v_cndmask_b32_e32 v7, v7, v9, vcc
	v_cndmask_b32_e32 v4, v4, v8, vcc
	v_add_u32_e32 v8, 1, v4
	v_cmp_le_u32_e32 vcc, s18, v7
	v_cndmask_b32_e32 v7, v4, v8, vcc
	v_mov_b32_e32 v8, v3
.LBB0_6:                                ;   in Loop: Header=BB0_2 Depth=1
	s_or_b64 exec, exec, s[0:1]
	v_mul_lo_u32 v4, v8, s18
	v_mul_lo_u32 v11, v7, s19
	v_mad_u64_u32 v[9:10], s[0:1], v7, s18, 0
	s_load_dwordx2 s[0:1], s[6:7], 0x0
	s_add_u32 s16, s16, 1
	v_add3_u32 v4, v10, v11, v4
	v_sub_co_u32_e32 v5, vcc, v5, v9
	v_subb_co_u32_e32 v4, vcc, v6, v4, vcc
	s_waitcnt lgkmcnt(0)
	v_mul_lo_u32 v4, s0, v4
	v_mul_lo_u32 v6, s1, v5
	v_mad_u64_u32 v[1:2], s[0:1], s0, v5, v[1:2]
	s_addc_u32 s17, s17, 0
	s_add_u32 s6, s6, 8
	v_add3_u32 v2, v6, v2, v4
	v_mov_b32_e32 v4, s10
	v_mov_b32_e32 v5, s11
	s_addc_u32 s7, s7, 0
	v_cmp_ge_u64_e32 vcc, s[16:17], v[4:5]
	s_add_u32 s14, s14, 8
	s_addc_u32 s15, s15, 0
	s_cbranch_vccnz .LBB0_9
; %bb.7:                                ;   in Loop: Header=BB0_2 Depth=1
	v_mov_b32_e32 v5, v7
	v_mov_b32_e32 v6, v8
	s_branch .LBB0_2
.LBB0_8:
	v_mov_b32_e32 v8, v6
	v_mov_b32_e32 v7, v5
.LBB0_9:
	s_lshl_b64 s[0:1], s[10:11], 3
	s_add_u32 s0, s12, s0
	s_addc_u32 s1, s13, s1
	s_load_dwordx2 s[6:7], s[0:1], 0x0
	s_load_dwordx2 s[10:11], s[4:5], 0x20
	s_waitcnt lgkmcnt(0)
	v_mad_u64_u32 v[1:2], s[0:1], s6, v7, v[1:2]
	s_mov_b32 s0, 0x1681682
	v_mul_lo_u32 v3, s6, v8
	v_mul_lo_u32 v4, s7, v7
	v_mul_hi_u32 v5, v0, s0
	v_cmp_gt_u64_e64 s[0:1], s[10:11], v[7:8]
	v_add3_u32 v2, v4, v2, v3
	v_mul_u32_u24_e32 v3, 0xb6, v5
	v_sub_u32_e32 v32, v0, v3
	v_lshlrev_b64 v[34:35], 3, v[1:2]
	v_lshl_add_u32 v40, v32, 3, 0
	s_and_saveexec_b64 s[4:5], s[0:1]
	s_cbranch_execz .LBB0_11
; %bb.10:
	v_mov_b32_e32 v33, 0
	v_mov_b32_e32 v0, s3
	v_add_co_u32_e32 v2, vcc, s2, v34
	v_addc_co_u32_e32 v3, vcc, v0, v35, vcc
	v_lshlrev_b64 v[0:1], 3, v[32:33]
	s_movk_i32 s6, 0x1000
	v_add_co_u32_e32 v0, vcc, v2, v0
	v_addc_co_u32_e32 v1, vcc, v3, v1, vcc
	v_add_co_u32_e32 v2, vcc, s6, v0
	v_addc_co_u32_e32 v3, vcc, 0, v1, vcc
	v_add_co_u32_e32 v4, vcc, 0x2000, v0
	global_load_dwordx2 v[6:7], v[0:1], off
	global_load_dwordx2 v[8:9], v[0:1], off offset:1456
	global_load_dwordx2 v[10:11], v[0:1], off offset:2912
	;; [unrolled: 1-line block ×3, first 2 shown]
	v_addc_co_u32_e32 v5, vcc, 0, v1, vcc
	global_load_dwordx2 v[0:1], v[2:3], off offset:1728
	global_load_dwordx2 v[14:15], v[2:3], off offset:3184
	;; [unrolled: 1-line block ×4, first 2 shown]
	v_add_u32_e32 v2, 0xa00, v40
	v_add_u32_e32 v3, 0x1600, v40
	s_waitcnt vmcnt(6)
	ds_write2_b64 v40, v[6:7], v[8:9] offset1:182
	s_waitcnt vmcnt(4)
	ds_write2_b64 v2, v[10:11], v[12:13] offset0:44 offset1:226
	s_waitcnt vmcnt(2)
	ds_write2_b64 v3, v[0:1], v[14:15] offset0:24 offset1:206
	v_add_u32_e32 v0, 0x2000, v40
	s_waitcnt vmcnt(0)
	ds_write2_b64 v0, v[16:17], v[18:19] offset0:68 offset1:250
.LBB0_11:
	s_or_b64 exec, exec, s[4:5]
	s_waitcnt lgkmcnt(0)
	s_barrier
	ds_read2_b64 v[8:11], v40 offset1:112
	ds_read_b64 v[2:3], v40 offset:10752
	v_add_u32_e32 v0, 0x400, v40
	v_add_u32_e32 v41, 0x2000, v40
	ds_read2_b64 v[12:15], v0 offset0:96 offset1:208
	ds_read2_b64 v[16:19], v41 offset0:96 offset1:208
	s_waitcnt lgkmcnt(2)
	v_sub_f32_e32 v65, v11, v3
	v_mul_f32_e32 v42, 0xbeedf032, v65
	v_add_f32_e32 v49, v2, v10
	v_mov_b32_e32 v0, v42
	s_waitcnt lgkmcnt(0)
	v_sub_f32_e32 v81, v13, v19
	v_mul_f32_e32 v43, 0xbf52af12, v81
	v_fmac_f32_e32 v0, 0x3f62ad3f, v49
	v_add_f32_e32 v51, v18, v12
	v_mov_b32_e32 v1, v43
	v_sub_f32_e32 v76, v10, v2
	v_add_f32_e32 v0, v8, v0
	v_fmac_f32_e32 v1, 0x3f116cb1, v51
	s_mov_b32 s6, 0x3f62ad3f
	v_add_f32_e32 v57, v3, v11
	v_mul_f32_e32 v44, 0xbeedf032, v76
	v_sub_f32_e32 v78, v12, v18
	v_add_f32_e32 v0, v1, v0
	v_fma_f32 v1, v57, s6, -v44
	s_mov_b32 s7, 0x3f116cb1
	v_add_f32_e32 v53, v19, v13
	v_mul_f32_e32 v45, 0xbf52af12, v78
	v_sub_f32_e32 v89, v15, v17
	v_add_f32_e32 v1, v9, v1
	v_fma_f32 v4, v53, s7, -v45
	v_mul_f32_e32 v46, 0xbf7e222b, v89
	v_add_f32_e32 v1, v4, v1
	v_add_f32_e32 v54, v16, v14
	v_mov_b32_e32 v4, v46
	v_fmac_f32_e32 v4, 0x3df6dbef, v54
	v_add_f32_e32 v0, v4, v0
	v_add_u32_e32 v4, 0x1800, v40
	v_add_u32_e32 v33, 0xc00, v40
	ds_read2_b64 v[20:23], v4 offset0:128 offset1:240
	ds_read2_b64 v[24:27], v33 offset0:64 offset1:176
	v_sub_f32_e32 v88, v14, v16
	s_mov_b32 s10, 0x3df6dbef
	v_add_f32_e32 v56, v17, v15
	v_mul_f32_e32 v47, 0xbf7e222b, v88
	s_waitcnt lgkmcnt(0)
	v_sub_f32_e32 v97, v25, v23
	v_fma_f32 v4, v56, s10, -v47
	v_mul_f32_e32 v48, 0xbf6f5d39, v97
	v_add_f32_e32 v1, v4, v1
	v_add_f32_e32 v59, v22, v24
	v_mov_b32_e32 v4, v48
	v_sub_f32_e32 v96, v24, v22
	v_fmac_f32_e32 v4, 0xbeb58ec6, v59
	s_mov_b32 s11, 0xbeb58ec6
	v_add_f32_e32 v60, v23, v25
	v_mul_f32_e32 v50, 0xbf6f5d39, v96
	v_sub_f32_e32 v105, v27, v21
	v_add_f32_e32 v0, v4, v0
	v_fma_f32 v4, v60, s11, -v50
	v_mul_f32_e32 v52, 0xbf29c268, v105
	v_add_f32_e32 v1, v4, v1
	v_add_f32_e32 v62, v20, v26
	v_mov_b32_e32 v4, v52
	v_fmac_f32_e32 v4, 0xbf3f9e67, v62
	v_add_f32_e32 v0, v4, v0
	v_add_u32_e32 v4, 0x1400, v40
	ds_read2_b64 v[28:31], v4 offset0:32 offset1:144
	v_sub_f32_e32 v98, v26, v20
	s_mov_b32 s12, 0xbf3f9e67
	v_add_f32_e32 v63, v21, v27
	v_mul_f32_e32 v55, 0xbf29c268, v98
	s_waitcnt lgkmcnt(0)
	v_sub_f32_e32 v113, v29, v31
	v_fma_f32 v4, v63, s12, -v55
	v_mul_f32_e32 v58, 0xbe750f2a, v113
	v_add_f32_e32 v1, v4, v1
	v_add_f32_e32 v69, v30, v28
	v_mov_b32_e32 v4, v58
	v_sub_f32_e32 v106, v28, v30
	s_mov_b32 s13, 0xbf788fa5
	v_fmac_f32_e32 v4, 0xbf788fa5, v69
	v_add_f32_e32 v73, v31, v29
	v_mul_f32_e32 v61, 0xbe750f2a, v106
	v_mul_f32_e32 v64, 0xbf52af12, v65
	v_fma_f32 v5, v73, s13, -v61
	v_add_f32_e32 v0, v4, v0
	v_mov_b32_e32 v4, v64
	v_mul_f32_e32 v66, 0xbf6f5d39, v81
	v_add_f32_e32 v1, v5, v1
	v_fmac_f32_e32 v4, 0x3f116cb1, v49
	v_mov_b32_e32 v5, v66
	v_add_f32_e32 v4, v8, v4
	v_fmac_f32_e32 v5, 0xbeb58ec6, v51
	v_mul_f32_e32 v70, 0xbf52af12, v76
	v_add_f32_e32 v4, v5, v4
	v_fma_f32 v5, v57, s7, -v70
	v_mul_f32_e32 v72, 0xbf6f5d39, v78
	v_add_f32_e32 v5, v9, v5
	v_fma_f32 v6, v53, s11, -v72
	v_mul_f32_e32 v67, 0xbe750f2a, v89
	v_add_f32_e32 v5, v6, v5
	v_mov_b32_e32 v6, v67
	v_fmac_f32_e32 v6, 0xbf788fa5, v54
	v_mul_f32_e32 v75, 0xbe750f2a, v88
	v_add_f32_e32 v4, v6, v4
	v_fma_f32 v6, v56, s13, -v75
	v_mul_f32_e32 v68, 0x3f29c268, v97
	v_add_f32_e32 v5, v6, v5
	v_mov_b32_e32 v6, v68
	v_fmac_f32_e32 v6, 0xbf3f9e67, v59
	v_mul_f32_e32 v77, 0x3f29c268, v96
	v_add_f32_e32 v4, v6, v4
	v_fma_f32 v6, v60, s12, -v77
	v_mul_f32_e32 v71, 0x3f7e222b, v105
	v_add_f32_e32 v5, v6, v5
	v_mov_b32_e32 v6, v71
	v_fmac_f32_e32 v6, 0x3df6dbef, v62
	v_mul_f32_e32 v79, 0x3f7e222b, v98
	v_add_f32_e32 v4, v6, v4
	v_fma_f32 v6, v63, s10, -v79
	v_mul_f32_e32 v74, 0x3eedf032, v113
	v_add_f32_e32 v5, v6, v5
	v_mov_b32_e32 v6, v74
	v_fmac_f32_e32 v6, 0x3f62ad3f, v69
	v_mul_f32_e32 v80, 0x3eedf032, v106
	v_mul_f32_e32 v82, 0xbf7e222b, v65
	v_fma_f32 v7, v73, s6, -v80
	v_add_f32_e32 v6, v6, v4
	v_mov_b32_e32 v4, v82
	v_mul_f32_e32 v83, 0xbe750f2a, v81
	v_add_f32_e32 v7, v7, v5
	v_fmac_f32_e32 v4, 0x3df6dbef, v49
	v_mov_b32_e32 v5, v83
	v_add_f32_e32 v4, v8, v4
	v_fmac_f32_e32 v5, 0xbf788fa5, v51
	v_mul_f32_e32 v84, 0x3f6f5d39, v89
	v_add_f32_e32 v4, v5, v4
	v_mov_b32_e32 v5, v84
	v_fmac_f32_e32 v5, 0xbeb58ec6, v54
	v_mul_f32_e32 v85, 0x3eedf032, v97
	v_add_f32_e32 v4, v5, v4
	v_mov_b32_e32 v5, v85
	;; [unrolled: 4-line block ×4, first 2 shown]
	v_fmac_f32_e32 v5, 0xbf3f9e67, v69
	v_mul_f32_e32 v94, 0xbf7e222b, v76
	v_add_f32_e32 v4, v5, v4
	v_fma_f32 v5, v57, s10, -v94
	v_mul_f32_e32 v95, 0xbe750f2a, v78
	v_add_f32_e32 v5, v9, v5
	v_fma_f32 v36, v53, s13, -v95
	;; [unrolled: 3-line block ×6, first 2 shown]
	v_mul_f32_e32 v102, 0xbf6f5d39, v65
	v_add_f32_e32 v5, v36, v5
	v_mov_b32_e32 v36, v102
	v_mul_f32_e32 v99, 0x3f29c268, v81
	v_fmac_f32_e32 v36, 0xbeb58ec6, v49
	v_mov_b32_e32 v37, v99
	v_add_f32_e32 v36, v8, v36
	v_fmac_f32_e32 v37, 0xbf3f9e67, v51
	v_mul_f32_e32 v111, 0xbf6f5d39, v76
	v_add_f32_e32 v36, v37, v36
	v_fma_f32 v37, v57, s11, -v111
	v_mul_f32_e32 v108, 0x3f29c268, v78
	v_add_f32_e32 v37, v9, v37
	v_fma_f32 v38, v53, s12, -v108
	v_mul_f32_e32 v104, 0x3eedf032, v89
	v_add_f32_e32 v37, v38, v37
	v_mov_b32_e32 v38, v104
	v_fmac_f32_e32 v38, 0x3f62ad3f, v54
	v_mul_f32_e32 v107, 0x3eedf032, v88
	v_add_f32_e32 v36, v38, v36
	v_fma_f32 v38, v56, s6, -v107
	v_mul_f32_e32 v103, 0xbf7e222b, v97
	v_add_f32_e32 v37, v38, v37
	v_mov_b32_e32 v38, v103
	v_fmac_f32_e32 v38, 0x3df6dbef, v59
	;; [unrolled: 7-line block ×4, first 2 shown]
	v_mul_f32_e32 v112, 0x3f52af12, v106
	v_add_f32_e32 v36, v38, v36
	v_fma_f32 v38, v73, s7, -v112
	v_mul_f32_e32 v114, 0xbf29c268, v65
	v_add_f32_e32 v37, v38, v37
	v_mov_b32_e32 v38, v114
	v_mul_f32_e32 v115, 0x3f7e222b, v81
	v_fmac_f32_e32 v38, 0xbf3f9e67, v49
	v_mov_b32_e32 v39, v115
	v_add_f32_e32 v38, v8, v38
	v_fmac_f32_e32 v39, 0x3df6dbef, v51
	v_mul_f32_e32 v120, 0xbf29c268, v76
	v_add_f32_e32 v38, v39, v38
	v_fma_f32 v39, v57, s12, -v120
	v_mul_f32_e32 v121, 0x3f7e222b, v78
	v_add_f32_e32 v39, v9, v39
	v_fma_f32 v116, v53, s10, -v121
	v_add_f32_e32 v39, v116, v39
	v_mul_f32_e32 v116, 0xbf52af12, v89
	v_mov_b32_e32 v117, v116
	v_fmac_f32_e32 v117, 0x3f116cb1, v54
	v_mul_f32_e32 v122, 0xbf52af12, v88
	v_add_f32_e32 v38, v117, v38
	v_fma_f32 v117, v56, s7, -v122
	v_add_f32_e32 v39, v117, v39
	v_mul_f32_e32 v117, 0x3e750f2a, v97
	v_mov_b32_e32 v118, v117
	v_fmac_f32_e32 v118, 0xbf788fa5, v59
	;; [unrolled: 7-line block ×4, first 2 shown]
	v_add_f32_e32 v38, v125, v38
	v_mul_f32_e32 v125, 0xbf6f5d39, v106
	v_fma_f32 v126, v73, s11, -v125
	s_movk_i32 s4, 0x70
	v_add_f32_e32 v39, v126, v39
	v_cmp_gt_u32_e32 vcc, s4, v32
	s_barrier
	s_and_saveexec_b64 s[4:5], vcc
	s_cbranch_execz .LBB0_13
; %bb.12:
	v_mul_f32_e32 v128, 0xbf788fa5, v57
	v_mov_b32_e32 v126, v128
	v_mul_f32_e32 v129, 0x3f62ad3f, v53
	v_fmac_f32_e32 v126, 0x3e750f2a, v76
	v_mov_b32_e32 v127, v129
	v_add_f32_e32 v126, v9, v126
	v_fmac_f32_e32 v127, 0xbeedf032, v78
	v_mul_f32_e32 v130, 0xbf3f9e67, v56
	v_add_f32_e32 v126, v127, v126
	v_mov_b32_e32 v127, v130
	v_fmac_f32_e32 v127, 0x3f29c268, v88
	v_mul_f32_e32 v131, 0x3f116cb1, v60
	v_add_f32_e32 v126, v127, v126
	v_mov_b32_e32 v127, v131
	;; [unrolled: 4-line block ×4, first 2 shown]
	v_mul_f32_e32 v81, 0x3eedf032, v81
	v_fmac_f32_e32 v127, 0xbf788fa5, v49
	v_mov_b32_e32 v133, v81
	v_add_f32_e32 v127, v8, v127
	v_fmac_f32_e32 v133, 0x3f62ad3f, v51
	v_mul_f32_e32 v89, 0xbf29c268, v89
	v_add_f32_e32 v127, v133, v127
	v_mov_b32_e32 v133, v89
	v_fmac_f32_e32 v133, 0xbf3f9e67, v54
	v_mul_f32_e32 v97, 0x3f52af12, v97
	v_fmac_f32_e32 v128, 0xbe750f2a, v76
	v_add_f32_e32 v127, v133, v127
	v_mov_b32_e32 v133, v97
	v_fmac_f32_e32 v129, 0x3eedf032, v78
	v_add_f32_e32 v76, v9, v128
	v_fma_f32 v65, v49, s13, -v65
	v_fmac_f32_e32 v133, 0x3f116cb1, v59
	v_mul_f32_e32 v105, 0xbf6f5d39, v105
	v_add_f32_e32 v76, v129, v76
	v_fmac_f32_e32 v130, 0xbf29c268, v88
	v_add_f32_e32 v65, v8, v65
	v_fma_f32 v78, v51, s6, -v81
	v_add_f32_e32 v127, v133, v127
	v_mov_b32_e32 v133, v105
	v_add_f32_e32 v76, v130, v76
	v_fmac_f32_e32 v131, 0x3f52af12, v96
	v_add_f32_e32 v65, v78, v65
	v_fma_f32 v78, v54, s12, -v89
	v_fmac_f32_e32 v133, 0xbeb58ec6, v62
	v_mul_f32_e32 v134, 0x3df6dbef, v73
	v_add_f32_e32 v76, v131, v76
	v_fmac_f32_e32 v132, 0xbf6f5d39, v98
	v_add_f32_e32 v65, v78, v65
	v_fma_f32 v78, v59, s7, -v97
	v_add_f32_e32 v133, v133, v127
	v_mov_b32_e32 v127, v134
	v_mul_f32_e32 v113, 0x3f7e222b, v113
	v_add_f32_e32 v76, v132, v76
	v_fmac_f32_e32 v134, 0x3f7e222b, v106
	v_add_f32_e32 v65, v78, v65
	v_fma_f32 v78, v62, s11, -v105
	v_add_f32_e32 v65, v78, v65
	v_add_f32_e32 v89, v134, v76
	v_fma_f32 v76, v69, s10, -v113
	v_add_f32_e32 v88, v76, v65
	v_mul_f32_e32 v65, 0xbf3f9e67, v57
	v_mul_f32_e32 v96, 0xbf3f9e67, v49
	v_add_f32_e32 v65, v120, v65
	v_mul_f32_e32 v76, 0x3df6dbef, v53
	v_sub_f32_e32 v96, v96, v114
	v_mul_f32_e32 v97, 0x3df6dbef, v51
	v_add_f32_e32 v76, v121, v76
	v_add_f32_e32 v65, v9, v65
	v_sub_f32_e32 v97, v97, v115
	v_add_f32_e32 v96, v8, v96
	v_add_f32_e32 v65, v76, v65
	v_mul_f32_e32 v76, 0x3f116cb1, v56
	v_add_f32_e32 v96, v97, v96
	v_mul_f32_e32 v97, 0x3f116cb1, v54
	v_add_f32_e32 v76, v122, v76
	v_sub_f32_e32 v97, v97, v116
	v_add_f32_e32 v65, v76, v65
	v_mul_f32_e32 v76, 0xbf788fa5, v60
	v_add_f32_e32 v96, v97, v96
	v_mul_f32_e32 v97, 0xbf788fa5, v59
	v_add_f32_e32 v76, v123, v76
	v_sub_f32_e32 v97, v97, v117
	v_add_f32_e32 v65, v76, v65
	v_mul_f32_e32 v76, 0x3f62ad3f, v63
	v_add_f32_e32 v96, v97, v96
	v_mul_f32_e32 v97, 0x3f62ad3f, v62
	v_fmac_f32_e32 v127, 0xbf7e222b, v106
	v_add_f32_e32 v76, v124, v76
	v_sub_f32_e32 v97, v97, v118
	v_add_f32_e32 v127, v127, v126
	v_mov_b32_e32 v126, v113
	v_mul_f32_e32 v81, 0x3f62ad3f, v57
	v_add_f32_e32 v65, v76, v65
	v_mul_f32_e32 v76, 0xbeb58ec6, v73
	v_mul_f32_e32 v105, 0x3f116cb1, v57
	;; [unrolled: 1-line block ×4, first 2 shown]
	v_add_f32_e32 v96, v97, v96
	v_mul_f32_e32 v97, 0xbeb58ec6, v69
	v_add_f32_e32 v76, v125, v76
	v_sub_f32_e32 v115, v97, v119
	v_add_f32_e32 v57, v111, v57
	v_mul_f32_e32 v111, 0xbf3f9e67, v53
	v_mul_f32_e32 v116, 0x3f116cb1, v53
	v_add_f32_e32 v97, v76, v65
	v_add_f32_e32 v96, v115, v96
	v_mul_f32_e32 v76, 0xbeb58ec6, v53
	v_add_f32_e32 v108, v108, v111
	v_mul_f32_e32 v115, 0xbf788fa5, v53
	;; [unrolled: 2-line block ×3, first 2 shown]
	v_mul_f32_e32 v78, 0x3f62ad3f, v49
	v_mul_f32_e32 v98, 0x3f116cb1, v49
	;; [unrolled: 1-line block ×4, first 2 shown]
	v_add_f32_e32 v53, v108, v53
	v_add_f32_e32 v57, v107, v57
	v_mul_f32_e32 v114, 0x3f116cb1, v51
	v_mul_f32_e32 v65, 0xbeb58ec6, v51
	;; [unrolled: 1-line block ×4, first 2 shown]
	v_add_f32_e32 v53, v57, v53
	v_mul_f32_e32 v57, 0x3df6dbef, v60
	v_sub_f32_e32 v49, v49, v102
	v_mul_f32_e32 v107, 0x3df6dbef, v54
	v_add_f32_e32 v57, v109, v57
	v_mul_f32_e32 v109, 0xbf788fa5, v54
	v_mul_f32_e32 v102, 0xbeb58ec6, v54
	v_mul_f32_e32 v54, 0x3f62ad3f, v54
	v_sub_f32_e32 v51, v51, v99
	v_add_f32_e32 v49, v8, v49
	v_add_f32_e32 v49, v51, v49
	v_sub_f32_e32 v54, v54, v104
	v_add_f32_e32 v49, v54, v49
	v_mul_f32_e32 v54, 0x3df6dbef, v59
	v_sub_f32_e32 v54, v54, v103
	v_add_f32_e32 v53, v57, v53
	v_mul_f32_e32 v57, 0xbf788fa5, v63
	v_add_f32_e32 v49, v54, v49
	v_mul_f32_e32 v54, 0xbf788fa5, v62
	v_add_f32_e32 v57, v110, v57
	v_sub_f32_e32 v54, v54, v101
	v_add_f32_e32 v53, v57, v53
	v_mul_f32_e32 v57, 0x3f116cb1, v73
	v_add_f32_e32 v49, v54, v49
	v_mul_f32_e32 v54, 0x3f116cb1, v69
	v_add_f32_e32 v57, v112, v57
	v_sub_f32_e32 v100, v54, v100
	v_mul_f32_e32 v112, 0xbf3f9e67, v63
	v_add_f32_e32 v54, v57, v53
	v_add_f32_e32 v53, v100, v49
	v_mul_f32_e32 v100, 0x3df6dbef, v63
	v_mul_f32_e32 v57, 0x3f116cb1, v63
	v_add_f32_e32 v63, v94, v113
	v_mul_f32_e32 v108, 0x3df6dbef, v56
	v_mul_f32_e32 v110, 0xbf788fa5, v56
	;; [unrolled: 1-line block ×3, first 2 shown]
	v_add_f32_e32 v95, v95, v115
	v_add_f32_e32 v63, v9, v63
	v_mul_f32_e32 v51, 0xbeb58ec6, v60
	v_mul_f32_e32 v103, 0xbf3f9e67, v60
	;; [unrolled: 1-line block ×3, first 2 shown]
	v_add_f32_e32 v63, v95, v63
	v_add_f32_e32 v56, v92, v56
	;; [unrolled: 1-line block ×4, first 2 shown]
	v_mul_f32_e32 v113, 0xbf788fa5, v73
	v_mul_f32_e32 v92, 0x3f62ad3f, v73
	;; [unrolled: 1-line block ×3, first 2 shown]
	v_add_f32_e32 v56, v60, v56
	v_add_f32_e32 v57, v91, v57
	;; [unrolled: 1-line block ×5, first 2 shown]
	v_sub_f32_e32 v56, v106, v82
	v_add_f32_e32 v56, v8, v56
	v_sub_f32_e32 v60, v111, v83
	v_mul_f32_e32 v99, 0xbeb58ec6, v59
	v_mul_f32_e32 v104, 0xbf3f9e67, v59
	v_mul_f32_e32 v59, 0x3f62ad3f, v59
	v_add_f32_e32 v56, v60, v56
	v_sub_f32_e32 v60, v102, v84
	v_mul_f32_e32 v101, 0xbf3f9e67, v62
	v_mul_f32_e32 v49, 0x3df6dbef, v62
	;; [unrolled: 1-line block ×3, first 2 shown]
	v_add_f32_e32 v56, v60, v56
	v_sub_f32_e32 v59, v59, v85
	v_fmac_f32_e32 v126, 0x3df6dbef, v69
	v_mul_f32_e32 v94, 0xbf788fa5, v69
	v_mul_f32_e32 v95, 0x3f62ad3f, v69
	;; [unrolled: 1-line block ×3, first 2 shown]
	v_add_f32_e32 v56, v59, v56
	v_sub_f32_e32 v59, v62, v86
	v_add_f32_e32 v56, v59, v56
	v_sub_f32_e32 v59, v69, v87
	v_add_f32_e32 v56, v59, v56
	v_add_f32_e32 v59, v70, v105
	;; [unrolled: 1-line block ×13, first 2 shown]
	v_sub_f32_e32 v59, v98, v64
	v_add_f32_e32 v44, v44, v81
	v_sub_f32_e32 v42, v78, v42
	v_add_f32_e32 v59, v8, v59
	v_add_f32_e32 v44, v9, v44
	;; [unrolled: 1-line block ×16, first 2 shown]
	v_sub_f32_e32 v43, v114, v43
	v_add_f32_e32 v9, v9, v31
	v_add_f32_e32 v8, v8, v30
	v_sub_f32_e32 v62, v65, v66
	v_add_f32_e32 v44, v45, v44
	v_add_f32_e32 v45, v47, v108
	v_add_f32_e32 v42, v43, v42
	v_sub_f32_e32 v43, v107, v46
	v_add_f32_e32 v9, v9, v21
	;; [unrolled: 4-line block ×8, first 2 shown]
	v_add_f32_e32 v8, v8, v18
	s_movk_i32 s6, 0x60
	v_add_f32_e32 v49, v49, v59
	v_sub_f32_e32 v59, v95, v74
	v_add_f32_e32 v44, v45, v44
	v_add_f32_e32 v43, v43, v42
	;; [unrolled: 1-line block ×4, first 2 shown]
	v_mad_u32_u24 v8, v32, s6, v40
	v_add_f32_e32 v126, v126, v133
	v_add_f32_e32 v59, v59, v49
	ds_write2_b64 v8, v[2:3], v[43:44] offset1:1
	ds_write2_b64 v8, v[59:60], v[56:57] offset0:2 offset1:3
	ds_write2_b64 v8, v[53:54], v[96:97] offset0:4 offset1:5
	;; [unrolled: 1-line block ×5, first 2 shown]
	ds_write_b64 v8, v[0:1] offset:96
.LBB0_13:
	s_or_b64 exec, exec, s[4:5]
	s_movk_i32 s4, 0x4f
	v_mul_lo_u16_sdwa v29, v32, s4 dst_sel:DWORD dst_unused:UNUSED_PAD src0_sel:BYTE_0 src1_sel:DWORD
	v_lshrrev_b16_e32 v30, 10, v29
	v_mul_lo_u16_e32 v2, 13, v30
	v_add_u32_e32 v26, 0xb6, v32
	v_sub_u16_e32 v31, v32, v2
	v_mov_b32_e32 v28, 3
	s_movk_i32 s4, 0x4ec5
	v_mul_u32_u24_sdwa v2, v31, v28 dst_sel:DWORD dst_unused:UNUSED_PAD src0_sel:BYTE_0 src1_sel:DWORD
	v_mul_u32_u24_sdwa v27, v26, s4 dst_sel:DWORD dst_unused:UNUSED_PAD src0_sel:WORD_0 src1_sel:DWORD
	v_lshlrev_b32_e32 v12, 3, v2
	v_lshrrev_b32_e32 v49, 18, v27
	s_waitcnt lgkmcnt(0)
	s_barrier
	global_load_dwordx2 v[2:3], v12, s[8:9] offset:16
	global_load_dwordx4 v[8:11], v12, s[8:9]
	v_mul_lo_u16_e32 v12, 13, v49
	v_sub_u16_e32 v50, v26, v12
	v_mul_u32_u24_e32 v12, 3, v50
	v_lshlrev_b32_e32 v16, 3, v12
	global_load_dwordx4 v[12:15], v16, s[8:9]
	global_load_dwordx2 v[24:25], v16, s[8:9] offset:16
	v_add_u32_e32 v42, 0xa00, v40
	v_add_u32_e32 v45, 0x1600, v40
	ds_read2_b64 v[16:19], v40 offset1:182
	ds_read2_b64 v[20:23], v41 offset0:68 offset1:250
	ds_read2_b64 v[41:44], v42 offset0:44 offset1:226
	;; [unrolled: 1-line block ×3, first 2 shown]
	v_mul_u32_u24_e32 v30, 0x1a0, v30
	v_lshlrev_b32_sdwa v31, v28, v31 dst_sel:DWORD dst_unused:UNUSED_PAD src0_sel:DWORD src1_sel:BYTE_0
	v_add3_u32 v30, 0, v30, v31
	v_mul_u32_u24_e32 v49, 0x1a0, v49
	s_waitcnt vmcnt(0) lgkmcnt(0)
	s_barrier
	v_cmp_gt_u32_e32 vcc, 26, v32
	v_mul_f32_e32 v52, v3, v21
	v_mul_f32_e32 v31, v9, v42
	;; [unrolled: 1-line block ×12, first 2 shown]
	v_fma_f32 v31, v8, v41, -v31
	v_fmac_f32_e32 v9, v8, v42
	v_fma_f32 v8, v10, v45, -v51
	v_fmac_f32_e32 v11, v10, v46
	;; [unrolled: 2-line block ×6, first 2 shown]
	v_sub_f32_e32 v14, v16, v8
	v_sub_f32_e32 v21, v17, v11
	;; [unrolled: 1-line block ×8, first 2 shown]
	v_fma_f32 v24, v16, 2.0, -v14
	v_fma_f32 v25, v17, 2.0, -v21
	;; [unrolled: 1-line block ×4, first 2 shown]
	v_sub_f32_e32 v2, v14, v3
	v_add_f32_e32 v3, v21, v8
	v_fma_f32 v31, v18, 2.0, -v22
	v_fma_f32 v41, v19, 2.0, -v23
	;; [unrolled: 1-line block ×4, first 2 shown]
	v_sub_f32_e32 v8, v22, v11
	v_add_f32_e32 v9, v23, v10
	v_sub_f32_e32 v10, v24, v12
	v_sub_f32_e32 v11, v25, v15
	v_fma_f32 v12, v14, 2.0, -v2
	v_fma_f32 v13, v21, 2.0, -v3
	v_sub_f32_e32 v14, v31, v16
	v_sub_f32_e32 v15, v41, v17
	v_fma_f32 v18, v24, 2.0, -v10
	v_fma_f32 v19, v25, 2.0, -v11
	ds_write2_b64 v30, v[10:11], v[2:3] offset0:26 offset1:39
	ds_write2_b64 v30, v[18:19], v[12:13] offset1:13
	v_lshlrev_b32_e32 v2, 3, v50
	v_fma_f32 v16, v22, 2.0, -v8
	v_fma_f32 v17, v23, 2.0, -v9
	;; [unrolled: 1-line block ×4, first 2 shown]
	v_add3_u32 v2, 0, v49, v2
	ds_write2_b64 v2, v[20:21], v[16:17] offset1:13
	ds_write2_b64 v2, v[14:15], v[8:9] offset0:26 offset1:39
	v_add_u32_e32 v2, 0x1a00, v40
	s_waitcnt lgkmcnt(0)
	s_barrier
	ds_read2_b64 v[12:15], v40 offset1:208
	ds_read2_b64 v[16:19], v33 offset0:32 offset1:240
	ds_read2_b64 v[20:23], v2 offset1:208
	ds_read_b64 v[24:25], v40 offset:9984
	s_and_saveexec_b64 s[4:5], vcc
	s_cbranch_execz .LBB0_15
; %bb.14:
	v_add_u32_e32 v0, 0x500, v40
	ds_read2_b64 v[8:11], v0 offset0:22 offset1:230
	v_add_u32_e32 v0, 0x1000, v40
	ds_read2_b32 v[36:37], v0 offset0:172 offset1:173
	v_add_u32_e32 v0, 0x1800, v40
	ds_read2_b64 v[4:7], v0 offset0:38 offset1:246
	v_add_u32_e32 v0, 0x2600, v40
	ds_read2_b64 v[0:3], v0 offset0:6 offset1:214
	s_waitcnt lgkmcnt(3)
	v_mov_b32_e32 v39, v11
	v_mov_b32_e32 v38, v10
.LBB0_15:
	s_or_b64 exec, exec, s[4:5]
	v_lshrrev_b16_e32 v29, 12, v29
	v_mul_lo_u16_e32 v10, 52, v29
	v_sub_u16_e32 v30, v32, v10
	v_mov_b32_e32 v10, 6
	v_mul_u32_u24_sdwa v10, v30, v10 dst_sel:DWORD dst_unused:UNUSED_PAD src0_sel:BYTE_0 src1_sel:DWORD
	v_lshlrev_b32_e32 v10, 3, v10
	global_load_dwordx4 v[41:44], v10, s[8:9] offset:312
	global_load_dwordx4 v[45:48], v10, s[8:9] offset:328
	;; [unrolled: 1-line block ×3, first 2 shown]
	s_mov_b32 s6, 0x3f5ff5aa
	s_mov_b32 s7, 0x3f3bfb3b
	;; [unrolled: 1-line block ×4, first 2 shown]
	s_waitcnt vmcnt(0) lgkmcnt(0)
	s_barrier
	v_mul_f32_e32 v10, v42, v15
	v_mul_f32_e32 v11, v42, v14
	;; [unrolled: 1-line block ×12, first 2 shown]
	v_fma_f32 v10, v41, v14, -v10
	v_fmac_f32_e32 v11, v41, v15
	v_fma_f32 v14, v43, v16, -v31
	v_fmac_f32_e32 v33, v43, v17
	v_fma_f32 v15, v45, v18, -v42
	v_fma_f32 v17, v49, v22, -v53
	v_fmac_f32_e32 v50, v49, v23
	v_fma_f32 v18, v51, v24, -v54
	v_fmac_f32_e32 v52, v51, v25
	v_fmac_f32_e32 v44, v45, v19
	v_fma_f32 v16, v47, v20, -v46
	v_fmac_f32_e32 v48, v47, v21
	v_add_f32_e32 v19, v10, v18
	v_add_f32_e32 v20, v11, v52
	v_sub_f32_e32 v10, v10, v18
	v_add_f32_e32 v18, v14, v17
	v_add_f32_e32 v21, v33, v50
	v_sub_f32_e32 v14, v14, v17
	v_sub_f32_e32 v17, v33, v50
	v_add_f32_e32 v22, v15, v16
	v_add_f32_e32 v23, v44, v48
	v_sub_f32_e32 v15, v16, v15
	;; [unrolled: 4-line block ×3, first 2 shown]
	v_sub_f32_e32 v31, v18, v19
	v_sub_f32_e32 v33, v21, v20
	;; [unrolled: 1-line block ×6, first 2 shown]
	v_add_f32_e32 v41, v15, v14
	v_add_f32_e32 v42, v16, v17
	v_sub_f32_e32 v43, v15, v14
	v_sub_f32_e32 v44, v16, v17
	v_add_f32_e32 v22, v22, v24
	v_add_f32_e32 v23, v23, v25
	v_sub_f32_e32 v15, v10, v15
	v_sub_f32_e32 v16, v11, v16
	;; [unrolled: 1-line block ×4, first 2 shown]
	v_add_f32_e32 v24, v41, v10
	v_add_f32_e32 v25, v42, v11
	v_mul_f32_e32 v19, 0x3f4a47b2, v19
	v_mul_f32_e32 v20, 0x3f4a47b2, v20
	;; [unrolled: 1-line block ×6, first 2 shown]
	v_add_f32_e32 v10, v22, v12
	v_add_f32_e32 v11, v23, v13
	v_mul_f32_e32 v45, 0x3f5ff5aa, v14
	v_mul_f32_e32 v46, 0x3f5ff5aa, v17
	v_fma_f32 v12, v31, s7, -v41
	v_fma_f32 v13, v33, s7, -v42
	;; [unrolled: 1-line block ×3, first 2 shown]
	v_fmac_f32_e32 v19, 0x3d64c772, v18
	v_fma_f32 v18, v33, s10, -v20
	v_fmac_f32_e32 v20, 0x3d64c772, v21
	v_fma_f32 v21, v14, s6, -v43
	v_fma_f32 v33, v17, s6, -v44
	v_mov_b32_e32 v14, v10
	v_mov_b32_e32 v17, v11
	v_fmac_f32_e32 v43, 0x3eae86e6, v15
	v_fmac_f32_e32 v44, 0x3eae86e6, v16
	;; [unrolled: 1-line block ×4, first 2 shown]
	v_fma_f32 v22, v15, s11, -v45
	v_fma_f32 v23, v16, s11, -v46
	v_add_f32_e32 v41, v19, v14
	v_add_f32_e32 v42, v20, v17
	v_fmac_f32_e32 v43, 0x3ee1c552, v24
	v_fmac_f32_e32 v44, 0x3ee1c552, v25
	v_fmac_f32_e32 v21, 0x3ee1c552, v24
	v_fmac_f32_e32 v33, 0x3ee1c552, v25
	v_fmac_f32_e32 v22, 0x3ee1c552, v24
	v_fmac_f32_e32 v23, 0x3ee1c552, v25
	v_mul_u32_u24_e32 v24, 0xb60, v29
	v_lshlrev_b32_sdwa v25, v28, v30 dst_sel:DWORD dst_unused:UNUSED_PAD src0_sel:DWORD src1_sel:BYTE_0
	v_add_f32_e32 v19, v12, v14
	v_add_f32_e32 v20, v13, v17
	v_add_f32_e32 v31, v31, v14
	v_add_f32_e32 v45, v18, v17
	v_add_f32_e32 v12, v44, v41
	v_sub_f32_e32 v13, v42, v43
	v_add3_u32 v24, 0, v24, v25
	v_add_f32_e32 v14, v23, v31
	v_sub_f32_e32 v15, v45, v22
	v_sub_f32_e32 v16, v19, v33
	v_add_f32_e32 v17, v21, v20
	v_add_f32_e32 v18, v33, v19
	v_sub_f32_e32 v19, v20, v21
	v_sub_f32_e32 v20, v31, v23
	v_add_f32_e32 v21, v22, v45
	ds_write2_b64 v24, v[10:11], v[12:13] offset1:52
	ds_write2_b64 v24, v[14:15], v[16:17] offset0:104 offset1:156
	v_add_u32_e32 v10, 0x400, v24
	v_sub_f32_e32 v22, v41, v44
	v_add_f32_e32 v23, v43, v42
	ds_write2_b64 v10, v[18:19], v[20:21] offset0:80 offset1:132
	ds_write_b64 v24, v[22:23] offset:2496
	s_and_saveexec_b64 s[4:5], vcc
	s_cbranch_execz .LBB0_17
; %bb.16:
	v_lshrrev_b32_e32 v10, 20, v27
	v_mul_lo_u16_e32 v10, 52, v10
	v_sub_u16_e32 v22, v26, v10
	v_mul_u32_u24_e32 v10, 6, v22
	v_lshlrev_b32_e32 v23, 3, v10
	global_load_dwordx4 v[10:13], v23, s[8:9] offset:312
	global_load_dwordx4 v[14:17], v23, s[8:9] offset:344
	;; [unrolled: 1-line block ×3, first 2 shown]
	s_waitcnt vmcnt(2)
	v_mul_f32_e32 v23, v39, v11
	s_waitcnt vmcnt(1)
	v_mul_f32_e32 v24, v3, v17
	s_waitcnt vmcnt(0)
	v_mul_f32_e32 v25, v7, v21
	v_mul_f32_e32 v26, v5, v19
	v_mul_f32_e32 v27, v37, v13
	;; [unrolled: 1-line block ×9, first 2 shown]
	v_fma_f32 v23, v38, v10, -v23
	v_fma_f32 v2, v2, v16, -v24
	;; [unrolled: 1-line block ×6, first 2 shown]
	v_fmac_f32_e32 v17, v3, v16
	v_fmac_f32_e32 v11, v39, v10
	v_fmac_f32_e32 v19, v5, v18
	v_fmac_f32_e32 v21, v7, v20
	v_fmac_f32_e32 v15, v1, v14
	v_fmac_f32_e32 v13, v37, v12
	v_sub_f32_e32 v1, v23, v2
	v_sub_f32_e32 v3, v6, v4
	;; [unrolled: 1-line block ×3, first 2 shown]
	v_add_f32_e32 v2, v23, v2
	v_add_f32_e32 v0, v24, v0
	;; [unrolled: 1-line block ×6, first 2 shown]
	v_sub_f32_e32 v6, v11, v17
	v_sub_f32_e32 v11, v21, v19
	;; [unrolled: 1-line block ×4, first 2 shown]
	v_add_f32_e32 v21, v0, v2
	v_sub_f32_e32 v19, v2, v4
	v_sub_f32_e32 v20, v4, v0
	;; [unrolled: 1-line block ×3, first 2 shown]
	v_mul_f32_e32 v15, 0xbf08b237, v15
	v_add_f32_e32 v4, v4, v21
	v_sub_f32_e32 v14, v1, v3
	v_add_f32_e32 v3, v3, v5
	v_sub_f32_e32 v16, v7, v10
	v_sub_f32_e32 v17, v10, v12
	v_add_f32_e32 v18, v12, v7
	v_sub_f32_e32 v7, v12, v7
	v_sub_f32_e32 v12, v0, v2
	v_mul_f32_e32 v5, 0x3f5ff5aa, v25
	v_mov_b32_e32 v21, v15
	v_add_f32_e32 v0, v8, v4
	v_sub_f32_e32 v23, v6, v11
	v_sub_f32_e32 v24, v11, v13
	v_add_f32_e32 v11, v11, v13
	v_add_f32_e32 v26, v3, v1
	;; [unrolled: 1-line block ×3, first 2 shown]
	v_mul_f32_e32 v10, 0x3f4a47b2, v19
	v_fma_f32 v28, v14, s11, -v5
	v_fmac_f32_e32 v21, 0x3eae86e6, v14
	v_mov_b32_e32 v14, v0
	v_mul_f32_e32 v2, 0x3f4a47b2, v16
	v_mul_f32_e32 v19, 0xbf08b237, v24
	v_add_f32_e32 v11, v11, v6
	v_add_f32_e32 v1, v9, v3
	v_mov_b32_e32 v9, v10
	v_fmac_f32_e32 v14, 0xbf955555, v4
	v_fma_f32 v4, v12, s10, -v10
	v_sub_f32_e32 v6, v13, v6
	v_mul_f32_e32 v16, 0x3d64c772, v17
	v_mul_f32_e32 v18, 0x3d64c772, v20
	v_mov_b32_e32 v24, v2
	v_mov_b32_e32 v27, v19
	;; [unrolled: 1-line block ×3, first 2 shown]
	v_fmac_f32_e32 v9, 0x3d64c772, v20
	v_add_f32_e32 v10, v4, v14
	v_mul_f32_e32 v4, 0x3f5ff5aa, v6
	v_fma_f32 v2, v7, s10, -v2
	v_fmac_f32_e32 v24, 0x3d64c772, v17
	v_fmac_f32_e32 v27, 0x3eae86e6, v23
	;; [unrolled: 1-line block ×3, first 2 shown]
	v_add_f32_e32 v20, v9, v14
	v_fma_f32 v13, v23, s11, -v4
	v_fma_f32 v7, v7, s7, -v16
	;; [unrolled: 1-line block ×5, first 2 shown]
	v_fmac_f32_e32 v21, 0x3ee1c552, v26
	v_fmac_f32_e32 v27, 0x3ee1c552, v11
	v_add_f32_e32 v17, v24, v8
	v_add_f32_e32 v24, v2, v8
	v_fmac_f32_e32 v13, 0x3ee1c552, v11
	v_add_f32_e32 v8, v7, v8
	v_fmac_f32_e32 v9, 0x3ee1c552, v26
	v_fmac_f32_e32 v15, 0x3ee1c552, v11
	v_add_f32_e32 v11, v6, v14
	v_lshl_add_u32 v14, v22, 3, 0
	v_fmac_f32_e32 v28, 0x3ee1c552, v26
	v_sub_f32_e32 v4, v10, v13
	v_sub_f32_e32 v7, v8, v9
	v_add_f32_e32 v6, v15, v11
	v_add_f32_e32 v9, v9, v8
	v_sub_f32_e32 v8, v11, v15
	v_add_f32_e32 v10, v13, v10
	v_sub_f32_e32 v13, v17, v21
	v_add_f32_e32 v12, v27, v20
	v_add_u32_e32 v15, 0x2000, v14
	v_add_f32_e32 v5, v28, v24
	v_sub_f32_e32 v11, v24, v28
	ds_write2_b64 v15, v[0:1], v[12:13] offset0:68 offset1:120
	ds_write2_b64 v15, v[10:11], v[8:9] offset0:172 offset1:224
	v_add_u32_e32 v0, 0x2800, v14
	v_add_f32_e32 v3, v21, v17
	v_sub_f32_e32 v2, v20, v27
	ds_write2_b64 v0, v[6:7], v[4:5] offset0:20 offset1:72
	ds_write_b64 v14, v[2:3] offset:11232
.LBB0_17:
	s_or_b64 exec, exec, s[4:5]
	v_mov_b32_e32 v33, 0
	v_lshlrev_b64 v[0:1], 3, v[32:33]
	v_mov_b32_e32 v2, s9
	v_add_co_u32_e32 v18, vcc, s8, v0
	v_addc_co_u32_e32 v19, vcc, v2, v1, vcc
	s_movk_i32 s4, 0x1000
	v_add_co_u32_e32 v22, vcc, s4, v18
	s_waitcnt lgkmcnt(0)
	s_barrier
	global_load_dwordx2 v[20:21], v[18:19], off offset:2808
	v_addc_co_u32_e32 v23, vcc, 0, v19, vcc
	global_load_dwordx2 v[24:25], v[22:23], off offset:168
	v_add_u32_e32 v26, 0x1600, v40
	ds_read2_b64 v[2:5], v40 offset1:182
	v_add_u32_e32 v27, 0xa00, v40
	v_add_u32_e32 v28, 0x2000, v40
	ds_read2_b64 v[6:9], v26 offset0:24 offset1:206
	ds_read2_b64 v[10:13], v27 offset0:44 offset1:226
	;; [unrolled: 1-line block ×3, first 2 shown]
	s_movk_i32 s4, 0x2000
	s_waitcnt vmcnt(0) lgkmcnt(0)
	s_barrier
	s_add_u32 s6, s8, 0x2d18
	s_addc_u32 s7, s9, 0
	v_mul_f32_e32 v29, v21, v7
	v_mul_f32_e32 v30, v21, v6
	;; [unrolled: 1-line block ×4, first 2 shown]
	v_fma_f32 v6, v20, v6, -v29
	v_fmac_f32_e32 v30, v20, v7
	v_mul_f32_e32 v7, v25, v9
	v_mul_f32_e32 v29, v25, v8
	v_fma_f32 v14, v20, v14, -v31
	v_fmac_f32_e32 v21, v20, v15
	v_mul_f32_e32 v15, v25, v17
	v_mul_f32_e32 v20, v25, v16
	v_fma_f32 v25, v24, v8, -v7
	v_fmac_f32_e32 v29, v24, v9
	v_fma_f32 v16, v24, v16, -v15
	v_fmac_f32_e32 v20, v24, v17
	v_sub_f32_e32 v6, v2, v6
	v_sub_f32_e32 v7, v3, v30
	;; [unrolled: 1-line block ×4, first 2 shown]
	v_fma_f32 v2, v2, 2.0, -v6
	v_sub_f32_e32 v14, v4, v25
	v_sub_f32_e32 v15, v5, v29
	;; [unrolled: 1-line block ×4, first 2 shown]
	v_fma_f32 v3, v3, 2.0, -v7
	v_fma_f32 v10, v10, 2.0, -v8
	;; [unrolled: 1-line block ×7, first 2 shown]
	ds_write2_b64 v27, v[6:7], v[14:15] offset0:44 offset1:226
	ds_write2_b64 v28, v[8:9], v[16:17] offset0:68 offset1:250
	ds_write2_b64 v40, v[2:3], v[4:5] offset1:182
	ds_write2_b64 v26, v[10:11], v[12:13] offset0:24 offset1:206
	v_add_co_u32_e32 v2, vcc, s4, v18
	s_waitcnt lgkmcnt(0)
	s_barrier
	global_load_dwordx2 v[20:21], v[22:23], off offset:1624
	global_load_dwordx2 v[24:25], v[22:23], off offset:3080
	v_addc_co_u32_e32 v3, vcc, 0, v19, vcc
	global_load_dwordx2 v[18:19], v[2:3], off offset:440
	global_load_dwordx2 v[22:23], v[2:3], off offset:1896
	ds_read2_b64 v[2:5], v40 offset1:182
	ds_read2_b64 v[6:9], v26 offset0:24 offset1:206
	ds_read2_b64 v[10:13], v27 offset0:44 offset1:226
	;; [unrolled: 1-line block ×3, first 2 shown]
	s_waitcnt vmcnt(0) lgkmcnt(0)
	s_barrier
	v_cmp_ne_u32_e32 vcc, 0, v32
	v_mul_f32_e32 v29, v21, v7
	v_mul_f32_e32 v30, v25, v9
	;; [unrolled: 1-line block ×8, first 2 shown]
	v_fma_f32 v8, v24, v8, -v30
	v_fmac_f32_e32 v25, v24, v9
	v_fma_f32 v6, v20, v6, -v29
	v_fmac_f32_e32 v21, v20, v7
	;; [unrolled: 2-line block ×4, first 2 shown]
	v_sub_f32_e32 v8, v4, v8
	v_sub_f32_e32 v9, v5, v25
	;; [unrolled: 1-line block ×8, first 2 shown]
	v_fma_f32 v4, v4, 2.0, -v8
	v_fma_f32 v5, v5, 2.0, -v9
	;; [unrolled: 1-line block ×8, first 2 shown]
	ds_write2_b64 v26, v[6:7], v[8:9] offset0:24 offset1:206
	ds_write2_b64 v28, v[14:15], v[16:17] offset0:68 offset1:250
	ds_write2_b64 v40, v[2:3], v[4:5] offset1:182
	ds_write2_b64 v27, v[10:11], v[12:13] offset0:44 offset1:226
	s_waitcnt lgkmcnt(0)
	s_barrier
	ds_read_b64 v[4:5], v40
	v_lshlrev_b32_e32 v2, 3, v32
	v_sub_u32_e32 v6, 0, v2
                                        ; implicit-def: $vgpr2
                                        ; implicit-def: $vgpr7
                                        ; implicit-def: $vgpr8
	s_and_saveexec_b64 s[4:5], vcc
	s_xor_b64 s[4:5], exec, s[4:5]
	s_cbranch_execz .LBB0_19
; %bb.18:
	v_mov_b32_e32 v3, s7
	v_add_co_u32_e32 v2, vcc, s6, v0
	v_addc_co_u32_e32 v3, vcc, v3, v1, vcc
	global_load_dwordx2 v[9:10], v[2:3], off
	ds_read_b64 v[2:3], v6 offset:11648
	s_waitcnt lgkmcnt(0)
	v_add_f32_e32 v11, v2, v4
	v_sub_f32_e32 v2, v4, v2
	v_add_f32_e32 v7, v3, v5
	v_sub_f32_e32 v3, v5, v3
	v_mul_f32_e32 v5, 0.5, v2
	v_mul_f32_e32 v4, 0.5, v7
	;; [unrolled: 1-line block ×3, first 2 shown]
	s_waitcnt vmcnt(0)
	v_mul_f32_e32 v3, v10, v5
	v_fma_f32 v8, v4, v10, v2
	v_fma_f32 v10, v4, v10, -v2
	v_fma_f32 v7, 0.5, v11, v3
	v_fma_f32 v2, v11, 0.5, -v3
	v_fma_f32 v8, -v9, v5, v8
	v_fmac_f32_e32 v7, v9, v4
	v_fma_f32 v2, -v9, v4, v2
	v_fma_f32 v3, -v9, v5, v10
                                        ; implicit-def: $vgpr4_vgpr5
.LBB0_19:
	s_andn2_saveexec_b64 s[4:5], s[4:5]
	s_cbranch_execz .LBB0_21
; %bb.20:
	v_mov_b32_e32 v8, 0
	ds_read_b32 v3, v8 offset:5828
	s_waitcnt lgkmcnt(1)
	v_add_f32_e32 v7, v4, v5
	v_sub_f32_e32 v2, v4, v5
	s_waitcnt lgkmcnt(0)
	v_xor_b32_e32 v3, 0x80000000, v3
	ds_write_b32 v8, v3 offset:5828
	v_mov_b32_e32 v3, 0
.LBB0_21:
	s_or_b64 exec, exec, s[4:5]
	s_waitcnt lgkmcnt(0)
	v_mov_b32_e32 v5, s7
	v_add_co_u32_e32 v4, vcc, s6, v0
	v_addc_co_u32_e32 v5, vcc, v5, v1, vcc
	global_load_dwordx2 v[9:10], v[4:5], off offset:1456
	global_load_dwordx2 v[11:12], v[4:5], off offset:2912
	s_movk_i32 s4, 0x1000
	v_add_co_u32_e32 v4, vcc, s4, v4
	v_addc_co_u32_e32 v5, vcc, 0, v5, vcc
	global_load_dwordx2 v[4:5], v[4:5], off offset:272
	ds_write2_b32 v40, v7, v8 offset1:1
	ds_write_b64 v6, v[2:3] offset:11648
	ds_read_b64 v[2:3], v40 offset:1456
	ds_read_b64 v[7:8], v6 offset:10192
	v_add_u32_e32 v13, 0x400, v40
	s_waitcnt lgkmcnt(0)
	v_add_f32_e32 v14, v2, v7
	v_sub_f32_e32 v2, v2, v7
	v_add_f32_e32 v15, v3, v8
	v_sub_f32_e32 v3, v3, v8
	v_mul_f32_e32 v2, 0.5, v2
	v_mul_f32_e32 v7, 0.5, v15
	v_mul_f32_e32 v3, 0.5, v3
	s_waitcnt vmcnt(2)
	v_mul_f32_e32 v8, v10, v2
	v_fma_f32 v15, v7, v10, v3
	v_fma_f32 v3, v7, v10, -v3
	v_fma_f32 v10, 0.5, v14, v8
	v_fma_f32 v15, -v9, v2, v15
	v_fma_f32 v8, v14, 0.5, -v8
	v_fmac_f32_e32 v10, v9, v7
	v_fma_f32 v3, -v9, v2, v3
	v_fma_f32 v2, -v9, v7, v8
	ds_write2_b32 v13, v10, v15 offset0:108 offset1:109
	ds_write_b64 v6, v[2:3] offset:10192
	ds_read_b64 v[2:3], v40 offset:2912
	ds_read_b64 v[7:8], v6 offset:8736
	v_add_u32_e32 v9, 0x800, v40
	s_waitcnt lgkmcnt(0)
	v_add_f32_e32 v10, v2, v7
	v_sub_f32_e32 v2, v2, v7
	v_add_f32_e32 v13, v3, v8
	v_sub_f32_e32 v3, v3, v8
	v_mul_f32_e32 v2, 0.5, v2
	v_mul_f32_e32 v7, 0.5, v13
	v_mul_f32_e32 v3, 0.5, v3
	s_waitcnt vmcnt(1)
	v_mul_f32_e32 v8, v12, v2
	v_fma_f32 v13, v7, v12, v3
	v_fma_f32 v3, v7, v12, -v3
	v_fma_f32 v12, 0.5, v10, v8
	v_fma_f32 v13, -v11, v2, v13
	v_fma_f32 v8, v10, 0.5, -v8
	v_fmac_f32_e32 v12, v11, v7
	v_fma_f32 v3, -v11, v2, v3
	v_fma_f32 v2, -v11, v7, v8
	ds_write2_b32 v9, v12, v13 offset0:216 offset1:217
	;; [unrolled: 23-line block ×3, first 2 shown]
	ds_write_b64 v6, v[2:3] offset:7280
	s_waitcnt lgkmcnt(0)
	s_barrier
	s_and_saveexec_b64 s[6:7], s[0:1]
	s_cbranch_execz .LBB0_24
; %bb.22:
	ds_read2_b64 v[4:7], v40 offset1:182
	v_mov_b32_e32 v2, s3
	v_add_co_u32_e32 v3, vcc, s2, v34
	v_add_u32_e32 v8, 0xa00, v40
	v_addc_co_u32_e32 v2, vcc, v2, v35, vcc
	ds_read2_b64 v[8:11], v8 offset0:44 offset1:226
	v_add_co_u32_e32 v0, vcc, v3, v0
	v_addc_co_u32_e32 v1, vcc, v2, v1, vcc
	s_waitcnt lgkmcnt(1)
	global_store_dwordx2 v[0:1], v[4:5], off
	global_store_dwordx2 v[0:1], v[6:7], off offset:1456
	s_waitcnt lgkmcnt(0)
	global_store_dwordx2 v[0:1], v[8:9], off offset:2912
	v_add_u32_e32 v4, 0x1600, v40
	ds_read2_b64 v[4:7], v4 offset0:24 offset1:206
	v_add_co_u32_e32 v8, vcc, s4, v0
	v_addc_co_u32_e32 v9, vcc, 0, v1, vcc
	global_store_dwordx2 v[8:9], v[10:11], off offset:272
	s_waitcnt lgkmcnt(0)
	global_store_dwordx2 v[8:9], v[4:5], off offset:1728
	global_store_dwordx2 v[8:9], v[6:7], off offset:3184
	v_add_u32_e32 v4, 0x2000, v40
	ds_read2_b64 v[4:7], v4 offset0:68 offset1:250
	v_add_co_u32_e32 v0, vcc, 0x2000, v0
	v_addc_co_u32_e32 v1, vcc, 0, v1, vcc
	s_movk_i32 s0, 0xb5
	v_cmp_eq_u32_e32 vcc, s0, v32
	s_waitcnt lgkmcnt(0)
	global_store_dwordx2 v[0:1], v[4:5], off offset:544
	global_store_dwordx2 v[0:1], v[6:7], off offset:2000
	s_and_b64 exec, exec, vcc
	s_cbranch_execz .LBB0_24
; %bb.23:
	v_mov_b32_e32 v0, 0
	ds_read_b64 v[0:1], v0 offset:11648
	v_add_co_u32_e32 v3, vcc, 0x2000, v3
	v_addc_co_u32_e32 v4, vcc, 0, v2, vcc
	s_waitcnt lgkmcnt(0)
	global_store_dwordx2 v[3:4], v[0:1], off offset:3456
.LBB0_24:
	s_endpgm
	.section	.rodata,"a",@progbits
	.p2align	6, 0x0
	.amdhsa_kernel fft_rtc_fwd_len1456_factors_13_4_7_2_2_wgs_182_tpt_182_halfLds_sp_ip_CI_unitstride_sbrr_R2C_dirReg
		.amdhsa_group_segment_fixed_size 0
		.amdhsa_private_segment_fixed_size 0
		.amdhsa_kernarg_size 88
		.amdhsa_user_sgpr_count 6
		.amdhsa_user_sgpr_private_segment_buffer 1
		.amdhsa_user_sgpr_dispatch_ptr 0
		.amdhsa_user_sgpr_queue_ptr 0
		.amdhsa_user_sgpr_kernarg_segment_ptr 1
		.amdhsa_user_sgpr_dispatch_id 0
		.amdhsa_user_sgpr_flat_scratch_init 0
		.amdhsa_user_sgpr_private_segment_size 0
		.amdhsa_uses_dynamic_stack 0
		.amdhsa_system_sgpr_private_segment_wavefront_offset 0
		.amdhsa_system_sgpr_workgroup_id_x 1
		.amdhsa_system_sgpr_workgroup_id_y 0
		.amdhsa_system_sgpr_workgroup_id_z 0
		.amdhsa_system_sgpr_workgroup_info 0
		.amdhsa_system_vgpr_workitem_id 0
		.amdhsa_next_free_vgpr 135
		.amdhsa_next_free_sgpr 22
		.amdhsa_reserve_vcc 1
		.amdhsa_reserve_flat_scratch 0
		.amdhsa_float_round_mode_32 0
		.amdhsa_float_round_mode_16_64 0
		.amdhsa_float_denorm_mode_32 3
		.amdhsa_float_denorm_mode_16_64 3
		.amdhsa_dx10_clamp 1
		.amdhsa_ieee_mode 1
		.amdhsa_fp16_overflow 0
		.amdhsa_exception_fp_ieee_invalid_op 0
		.amdhsa_exception_fp_denorm_src 0
		.amdhsa_exception_fp_ieee_div_zero 0
		.amdhsa_exception_fp_ieee_overflow 0
		.amdhsa_exception_fp_ieee_underflow 0
		.amdhsa_exception_fp_ieee_inexact 0
		.amdhsa_exception_int_div_zero 0
	.end_amdhsa_kernel
	.text
.Lfunc_end0:
	.size	fft_rtc_fwd_len1456_factors_13_4_7_2_2_wgs_182_tpt_182_halfLds_sp_ip_CI_unitstride_sbrr_R2C_dirReg, .Lfunc_end0-fft_rtc_fwd_len1456_factors_13_4_7_2_2_wgs_182_tpt_182_halfLds_sp_ip_CI_unitstride_sbrr_R2C_dirReg
                                        ; -- End function
	.section	.AMDGPU.csdata,"",@progbits
; Kernel info:
; codeLenInByte = 8224
; NumSgprs: 26
; NumVgprs: 135
; ScratchSize: 0
; MemoryBound: 0
; FloatMode: 240
; IeeeMode: 1
; LDSByteSize: 0 bytes/workgroup (compile time only)
; SGPRBlocks: 3
; VGPRBlocks: 33
; NumSGPRsForWavesPerEU: 26
; NumVGPRsForWavesPerEU: 135
; Occupancy: 1
; WaveLimiterHint : 1
; COMPUTE_PGM_RSRC2:SCRATCH_EN: 0
; COMPUTE_PGM_RSRC2:USER_SGPR: 6
; COMPUTE_PGM_RSRC2:TRAP_HANDLER: 0
; COMPUTE_PGM_RSRC2:TGID_X_EN: 1
; COMPUTE_PGM_RSRC2:TGID_Y_EN: 0
; COMPUTE_PGM_RSRC2:TGID_Z_EN: 0
; COMPUTE_PGM_RSRC2:TIDIG_COMP_CNT: 0
	.type	__hip_cuid_6ff42b806dc7cf4e,@object ; @__hip_cuid_6ff42b806dc7cf4e
	.section	.bss,"aw",@nobits
	.globl	__hip_cuid_6ff42b806dc7cf4e
__hip_cuid_6ff42b806dc7cf4e:
	.byte	0                               ; 0x0
	.size	__hip_cuid_6ff42b806dc7cf4e, 1

	.ident	"AMD clang version 19.0.0git (https://github.com/RadeonOpenCompute/llvm-project roc-6.4.0 25133 c7fe45cf4b819c5991fe208aaa96edf142730f1d)"
	.section	".note.GNU-stack","",@progbits
	.addrsig
	.addrsig_sym __hip_cuid_6ff42b806dc7cf4e
	.amdgpu_metadata
---
amdhsa.kernels:
  - .args:
      - .actual_access:  read_only
        .address_space:  global
        .offset:         0
        .size:           8
        .value_kind:     global_buffer
      - .offset:         8
        .size:           8
        .value_kind:     by_value
      - .actual_access:  read_only
        .address_space:  global
        .offset:         16
        .size:           8
        .value_kind:     global_buffer
      - .actual_access:  read_only
        .address_space:  global
        .offset:         24
        .size:           8
        .value_kind:     global_buffer
      - .offset:         32
        .size:           8
        .value_kind:     by_value
      - .actual_access:  read_only
        .address_space:  global
        .offset:         40
        .size:           8
        .value_kind:     global_buffer
      - .actual_access:  read_only
        .address_space:  global
        .offset:         48
        .size:           8
        .value_kind:     global_buffer
      - .offset:         56
        .size:           4
        .value_kind:     by_value
      - .actual_access:  read_only
        .address_space:  global
        .offset:         64
        .size:           8
        .value_kind:     global_buffer
      - .actual_access:  read_only
        .address_space:  global
        .offset:         72
        .size:           8
        .value_kind:     global_buffer
      - .address_space:  global
        .offset:         80
        .size:           8
        .value_kind:     global_buffer
    .group_segment_fixed_size: 0
    .kernarg_segment_align: 8
    .kernarg_segment_size: 88
    .language:       OpenCL C
    .language_version:
      - 2
      - 0
    .max_flat_workgroup_size: 182
    .name:           fft_rtc_fwd_len1456_factors_13_4_7_2_2_wgs_182_tpt_182_halfLds_sp_ip_CI_unitstride_sbrr_R2C_dirReg
    .private_segment_fixed_size: 0
    .sgpr_count:     26
    .sgpr_spill_count: 0
    .symbol:         fft_rtc_fwd_len1456_factors_13_4_7_2_2_wgs_182_tpt_182_halfLds_sp_ip_CI_unitstride_sbrr_R2C_dirReg.kd
    .uniform_work_group_size: 1
    .uses_dynamic_stack: false
    .vgpr_count:     135
    .vgpr_spill_count: 0
    .wavefront_size: 64
amdhsa.target:   amdgcn-amd-amdhsa--gfx906
amdhsa.version:
  - 1
  - 2
...

	.end_amdgpu_metadata
